;; amdgpu-corpus repo=ROCm/rocFFT kind=compiled arch=gfx1201 opt=O3
	.text
	.amdgcn_target "amdgcn-amd-amdhsa--gfx1201"
	.amdhsa_code_object_version 6
	.protected	fft_rtc_back_len88_factors_11_8_wgs_121_tpt_11_halfLds_dp_ip_CI_unitstride_sbrr_R2C_dirReg ; -- Begin function fft_rtc_back_len88_factors_11_8_wgs_121_tpt_11_halfLds_dp_ip_CI_unitstride_sbrr_R2C_dirReg
	.globl	fft_rtc_back_len88_factors_11_8_wgs_121_tpt_11_halfLds_dp_ip_CI_unitstride_sbrr_R2C_dirReg
	.p2align	8
	.type	fft_rtc_back_len88_factors_11_8_wgs_121_tpt_11_halfLds_dp_ip_CI_unitstride_sbrr_R2C_dirReg,@function
fft_rtc_back_len88_factors_11_8_wgs_121_tpt_11_halfLds_dp_ip_CI_unitstride_sbrr_R2C_dirReg: ; @fft_rtc_back_len88_factors_11_8_wgs_121_tpt_11_halfLds_dp_ip_CI_unitstride_sbrr_R2C_dirReg
; %bb.0:
	s_load_b128 s[4:7], s[0:1], 0x0
	v_mul_u32_u24_e32 v1, 0x1746, v0
	s_clause 0x1
	s_load_b64 s[8:9], s[0:1], 0x50
	s_load_b64 s[10:11], s[0:1], 0x18
	v_mov_b32_e32 v5, 0
	v_lshrrev_b32_e32 v1, 16, v1
	s_delay_alu instid0(VALU_DEP_1) | instskip(SKIP_3) | instid1(VALU_DEP_1)
	v_mad_co_u64_u32 v[1:2], null, ttmp9, 11, v[1:2]
	v_mov_b32_e32 v3, 0
	v_mov_b32_e32 v4, 0
	;; [unrolled: 1-line block ×4, first 2 shown]
	s_wait_kmcnt 0x0
	v_cmp_lt_u64_e64 s2, s[6:7], 2
	v_mov_b32_e32 v9, v1
	s_delay_alu instid0(VALU_DEP_2)
	s_and_b32 vcc_lo, exec_lo, s2
	s_cbranch_vccnz .LBB0_8
; %bb.1:
	s_load_b64 s[2:3], s[0:1], 0x10
	v_dual_mov_b32 v3, 0 :: v_dual_mov_b32 v8, v2
	v_dual_mov_b32 v4, 0 :: v_dual_mov_b32 v7, v1
	s_add_nc_u64 s[12:13], s[10:11], 8
	s_mov_b64 s[14:15], 1
	s_wait_kmcnt 0x0
	s_add_nc_u64 s[16:17], s[2:3], 8
	s_mov_b32 s3, 0
.LBB0_2:                                ; =>This Inner Loop Header: Depth=1
	s_load_b64 s[18:19], s[16:17], 0x0
                                        ; implicit-def: $vgpr9_vgpr10
	s_mov_b32 s2, exec_lo
	s_wait_kmcnt 0x0
	v_or_b32_e32 v6, s19, v8
	s_delay_alu instid0(VALU_DEP_1)
	v_cmpx_ne_u64_e32 0, v[5:6]
	s_wait_alu 0xfffe
	s_xor_b32 s20, exec_lo, s2
	s_cbranch_execz .LBB0_4
; %bb.3:                                ;   in Loop: Header=BB0_2 Depth=1
	s_cvt_f32_u32 s2, s18
	s_cvt_f32_u32 s21, s19
	s_sub_nc_u64 s[24:25], 0, s[18:19]
	s_wait_alu 0xfffe
	s_delay_alu instid0(SALU_CYCLE_1) | instskip(SKIP_1) | instid1(SALU_CYCLE_2)
	s_fmamk_f32 s2, s21, 0x4f800000, s2
	s_wait_alu 0xfffe
	v_s_rcp_f32 s2, s2
	s_delay_alu instid0(TRANS32_DEP_1) | instskip(SKIP_1) | instid1(SALU_CYCLE_2)
	s_mul_f32 s2, s2, 0x5f7ffffc
	s_wait_alu 0xfffe
	s_mul_f32 s21, s2, 0x2f800000
	s_wait_alu 0xfffe
	s_delay_alu instid0(SALU_CYCLE_2) | instskip(SKIP_1) | instid1(SALU_CYCLE_2)
	s_trunc_f32 s21, s21
	s_wait_alu 0xfffe
	s_fmamk_f32 s2, s21, 0xcf800000, s2
	s_cvt_u32_f32 s23, s21
	s_wait_alu 0xfffe
	s_delay_alu instid0(SALU_CYCLE_1) | instskip(SKIP_1) | instid1(SALU_CYCLE_2)
	s_cvt_u32_f32 s22, s2
	s_wait_alu 0xfffe
	s_mul_u64 s[26:27], s[24:25], s[22:23]
	s_wait_alu 0xfffe
	s_mul_hi_u32 s29, s22, s27
	s_mul_i32 s28, s22, s27
	s_mul_hi_u32 s2, s22, s26
	s_mul_i32 s30, s23, s26
	s_wait_alu 0xfffe
	s_add_nc_u64 s[28:29], s[2:3], s[28:29]
	s_mul_hi_u32 s21, s23, s26
	s_mul_hi_u32 s31, s23, s27
	s_add_co_u32 s2, s28, s30
	s_wait_alu 0xfffe
	s_add_co_ci_u32 s2, s29, s21
	s_mul_i32 s26, s23, s27
	s_add_co_ci_u32 s27, s31, 0
	s_wait_alu 0xfffe
	s_add_nc_u64 s[26:27], s[2:3], s[26:27]
	s_wait_alu 0xfffe
	v_add_co_u32 v2, s2, s22, s26
	s_delay_alu instid0(VALU_DEP_1) | instskip(SKIP_1) | instid1(VALU_DEP_1)
	s_cmp_lg_u32 s2, 0
	s_add_co_ci_u32 s23, s23, s27
	v_readfirstlane_b32 s22, v2
	s_wait_alu 0xfffe
	s_delay_alu instid0(VALU_DEP_1)
	s_mul_u64 s[24:25], s[24:25], s[22:23]
	s_wait_alu 0xfffe
	s_mul_hi_u32 s27, s22, s25
	s_mul_i32 s26, s22, s25
	s_mul_hi_u32 s2, s22, s24
	s_mul_i32 s28, s23, s24
	s_wait_alu 0xfffe
	s_add_nc_u64 s[26:27], s[2:3], s[26:27]
	s_mul_hi_u32 s21, s23, s24
	s_mul_hi_u32 s22, s23, s25
	s_wait_alu 0xfffe
	s_add_co_u32 s2, s26, s28
	s_add_co_ci_u32 s2, s27, s21
	s_mul_i32 s24, s23, s25
	s_add_co_ci_u32 s25, s22, 0
	s_wait_alu 0xfffe
	s_add_nc_u64 s[24:25], s[2:3], s[24:25]
	s_wait_alu 0xfffe
	v_add_co_u32 v2, s2, v2, s24
	s_delay_alu instid0(VALU_DEP_1) | instskip(SKIP_1) | instid1(VALU_DEP_1)
	s_cmp_lg_u32 s2, 0
	s_add_co_ci_u32 s2, s23, s25
	v_mul_hi_u32 v6, v7, v2
	s_wait_alu 0xfffe
	v_mad_co_u64_u32 v[9:10], null, v7, s2, 0
	v_mad_co_u64_u32 v[11:12], null, v8, v2, 0
	;; [unrolled: 1-line block ×3, first 2 shown]
	s_delay_alu instid0(VALU_DEP_3) | instskip(SKIP_1) | instid1(VALU_DEP_4)
	v_add_co_u32 v2, vcc_lo, v6, v9
	s_wait_alu 0xfffd
	v_add_co_ci_u32_e32 v6, vcc_lo, 0, v10, vcc_lo
	s_delay_alu instid0(VALU_DEP_2) | instskip(SKIP_1) | instid1(VALU_DEP_2)
	v_add_co_u32 v2, vcc_lo, v2, v11
	s_wait_alu 0xfffd
	v_add_co_ci_u32_e32 v2, vcc_lo, v6, v12, vcc_lo
	s_wait_alu 0xfffd
	v_add_co_ci_u32_e32 v6, vcc_lo, 0, v14, vcc_lo
	s_delay_alu instid0(VALU_DEP_2) | instskip(SKIP_1) | instid1(VALU_DEP_2)
	v_add_co_u32 v2, vcc_lo, v2, v13
	s_wait_alu 0xfffd
	v_add_co_ci_u32_e32 v6, vcc_lo, 0, v6, vcc_lo
	s_delay_alu instid0(VALU_DEP_2) | instskip(SKIP_1) | instid1(VALU_DEP_3)
	v_mul_lo_u32 v11, s19, v2
	v_mad_co_u64_u32 v[9:10], null, s18, v2, 0
	v_mul_lo_u32 v12, s18, v6
	s_delay_alu instid0(VALU_DEP_2) | instskip(NEXT) | instid1(VALU_DEP_2)
	v_sub_co_u32 v9, vcc_lo, v7, v9
	v_add3_u32 v10, v10, v12, v11
	s_delay_alu instid0(VALU_DEP_1) | instskip(SKIP_1) | instid1(VALU_DEP_1)
	v_sub_nc_u32_e32 v11, v8, v10
	s_wait_alu 0xfffd
	v_subrev_co_ci_u32_e64 v11, s2, s19, v11, vcc_lo
	v_add_co_u32 v12, s2, v2, 2
	s_wait_alu 0xf1ff
	v_add_co_ci_u32_e64 v13, s2, 0, v6, s2
	v_sub_co_u32 v14, s2, v9, s18
	v_sub_co_ci_u32_e32 v10, vcc_lo, v8, v10, vcc_lo
	s_wait_alu 0xf1ff
	v_subrev_co_ci_u32_e64 v11, s2, 0, v11, s2
	s_delay_alu instid0(VALU_DEP_3) | instskip(NEXT) | instid1(VALU_DEP_3)
	v_cmp_le_u32_e32 vcc_lo, s18, v14
	v_cmp_eq_u32_e64 s2, s19, v10
	s_wait_alu 0xfffd
	v_cndmask_b32_e64 v14, 0, -1, vcc_lo
	v_cmp_le_u32_e32 vcc_lo, s19, v11
	s_wait_alu 0xfffd
	v_cndmask_b32_e64 v15, 0, -1, vcc_lo
	v_cmp_le_u32_e32 vcc_lo, s18, v9
	;; [unrolled: 3-line block ×3, first 2 shown]
	s_wait_alu 0xfffd
	v_cndmask_b32_e64 v16, 0, -1, vcc_lo
	v_cmp_eq_u32_e32 vcc_lo, s19, v11
	s_wait_alu 0xf1ff
	s_delay_alu instid0(VALU_DEP_2)
	v_cndmask_b32_e64 v9, v16, v9, s2
	s_wait_alu 0xfffd
	v_cndmask_b32_e32 v11, v15, v14, vcc_lo
	v_add_co_u32 v14, vcc_lo, v2, 1
	s_wait_alu 0xfffd
	v_add_co_ci_u32_e32 v15, vcc_lo, 0, v6, vcc_lo
	s_delay_alu instid0(VALU_DEP_3) | instskip(SKIP_1) | instid1(VALU_DEP_2)
	v_cmp_ne_u32_e32 vcc_lo, 0, v11
	s_wait_alu 0xfffd
	v_dual_cndmask_b32 v10, v15, v13 :: v_dual_cndmask_b32 v11, v14, v12
	v_cmp_ne_u32_e32 vcc_lo, 0, v9
	s_wait_alu 0xfffd
	s_delay_alu instid0(VALU_DEP_2) | instskip(NEXT) | instid1(VALU_DEP_3)
	v_cndmask_b32_e32 v10, v6, v10, vcc_lo
	v_cndmask_b32_e32 v9, v2, v11, vcc_lo
.LBB0_4:                                ;   in Loop: Header=BB0_2 Depth=1
	s_wait_alu 0xfffe
	s_and_not1_saveexec_b32 s2, s20
	s_cbranch_execz .LBB0_6
; %bb.5:                                ;   in Loop: Header=BB0_2 Depth=1
	v_cvt_f32_u32_e32 v2, s18
	s_sub_co_i32 s20, 0, s18
	s_delay_alu instid0(VALU_DEP_1) | instskip(NEXT) | instid1(TRANS32_DEP_1)
	v_rcp_iflag_f32_e32 v2, v2
	v_mul_f32_e32 v2, 0x4f7ffffe, v2
	s_delay_alu instid0(VALU_DEP_1) | instskip(SKIP_1) | instid1(VALU_DEP_1)
	v_cvt_u32_f32_e32 v2, v2
	s_wait_alu 0xfffe
	v_mul_lo_u32 v6, s20, v2
	s_delay_alu instid0(VALU_DEP_1) | instskip(NEXT) | instid1(VALU_DEP_1)
	v_mul_hi_u32 v6, v2, v6
	v_add_nc_u32_e32 v2, v2, v6
	s_delay_alu instid0(VALU_DEP_1) | instskip(NEXT) | instid1(VALU_DEP_1)
	v_mul_hi_u32 v2, v7, v2
	v_mul_lo_u32 v6, v2, s18
	v_add_nc_u32_e32 v9, 1, v2
	s_delay_alu instid0(VALU_DEP_2) | instskip(NEXT) | instid1(VALU_DEP_1)
	v_sub_nc_u32_e32 v6, v7, v6
	v_subrev_nc_u32_e32 v10, s18, v6
	v_cmp_le_u32_e32 vcc_lo, s18, v6
	s_wait_alu 0xfffd
	s_delay_alu instid0(VALU_DEP_2) | instskip(SKIP_2) | instid1(VALU_DEP_3)
	v_cndmask_b32_e32 v6, v6, v10, vcc_lo
	v_mov_b32_e32 v10, v5
	v_cndmask_b32_e32 v2, v2, v9, vcc_lo
	v_cmp_le_u32_e32 vcc_lo, s18, v6
	s_delay_alu instid0(VALU_DEP_2) | instskip(SKIP_1) | instid1(VALU_DEP_1)
	v_add_nc_u32_e32 v9, 1, v2
	s_wait_alu 0xfffd
	v_cndmask_b32_e32 v9, v2, v9, vcc_lo
.LBB0_6:                                ;   in Loop: Header=BB0_2 Depth=1
	s_wait_alu 0xfffe
	s_or_b32 exec_lo, exec_lo, s2
	s_load_b64 s[20:21], s[12:13], 0x0
	v_mul_lo_u32 v2, v10, s18
	v_mul_lo_u32 v6, v9, s19
	v_mad_co_u64_u32 v[11:12], null, v9, s18, 0
	s_add_nc_u64 s[14:15], s[14:15], 1
	s_add_nc_u64 s[12:13], s[12:13], 8
	s_wait_alu 0xfffe
	v_cmp_ge_u64_e64 s2, s[14:15], s[6:7]
	s_add_nc_u64 s[16:17], s[16:17], 8
	s_delay_alu instid0(VALU_DEP_2) | instskip(NEXT) | instid1(VALU_DEP_3)
	v_add3_u32 v2, v12, v6, v2
	v_sub_co_u32 v6, vcc_lo, v7, v11
	s_wait_alu 0xfffd
	s_delay_alu instid0(VALU_DEP_2) | instskip(SKIP_3) | instid1(VALU_DEP_2)
	v_sub_co_ci_u32_e32 v2, vcc_lo, v8, v2, vcc_lo
	s_and_b32 vcc_lo, exec_lo, s2
	s_wait_kmcnt 0x0
	v_mul_lo_u32 v7, s21, v6
	v_mul_lo_u32 v2, s20, v2
	v_mad_co_u64_u32 v[3:4], null, s20, v6, v[3:4]
	s_delay_alu instid0(VALU_DEP_1)
	v_add3_u32 v4, v7, v4, v2
	s_wait_alu 0xfffe
	s_cbranch_vccnz .LBB0_8
; %bb.7:                                ;   in Loop: Header=BB0_2 Depth=1
	v_dual_mov_b32 v7, v9 :: v_dual_mov_b32 v8, v10
	s_branch .LBB0_2
.LBB0_8:
	s_lshl_b64 s[2:3], s[6:7], 3
	v_mul_hi_u32 v2, 0xba2e8ba3, v1
	s_wait_alu 0xfffe
	s_add_nc_u64 s[2:3], s[10:11], s[2:3]
	s_load_b64 s[0:1], s[0:1], 0x20
	s_load_b64 s[2:3], s[2:3], 0x0
	v_mul_hi_u32 v5, 0x1745d175, v0
	s_delay_alu instid0(VALU_DEP_2) | instskip(NEXT) | instid1(VALU_DEP_1)
	v_lshrrev_b32_e32 v2, 3, v2
	v_mul_lo_u32 v6, v2, 11
	s_delay_alu instid0(VALU_DEP_1)
	v_sub_nc_u32_e32 v1, v1, v6
	s_wait_kmcnt 0x0
	v_cmp_gt_u64_e32 vcc_lo, s[0:1], v[9:10]
	v_mul_lo_u32 v7, s2, v10
	v_mul_lo_u32 v8, s3, v9
	v_mad_co_u64_u32 v[2:3], null, s2, v9, v[3:4]
	v_mul_u32_u24_e32 v4, 11, v5
	v_mul_u32_u24_e32 v1, 0x59, v1
	s_delay_alu instid0(VALU_DEP_2) | instskip(NEXT) | instid1(VALU_DEP_4)
	v_sub_nc_u32_e32 v44, v0, v4
	v_add3_u32 v3, v8, v3, v7
	s_delay_alu instid0(VALU_DEP_3) | instskip(NEXT) | instid1(VALU_DEP_3)
	v_lshlrev_b32_e32 v57, 4, v1
	v_lshlrev_b32_e32 v55, 4, v44
	s_delay_alu instid0(VALU_DEP_3)
	v_lshlrev_b64_e32 v[46:47], 4, v[2:3]
	s_and_saveexec_b32 s1, vcc_lo
	s_cbranch_execz .LBB0_10
; %bb.9:
	v_mov_b32_e32 v45, 0
	s_delay_alu instid0(VALU_DEP_2) | instskip(SKIP_2) | instid1(VALU_DEP_3)
	v_add_co_u32 v2, s0, s8, v46
	s_wait_alu 0xf1ff
	v_add_co_ci_u32_e64 v3, s0, s9, v47, s0
	v_lshlrev_b64_e32 v[0:1], 4, v[44:45]
	v_add3_u32 v32, 0, v57, v55
	s_delay_alu instid0(VALU_DEP_2) | instskip(SKIP_1) | instid1(VALU_DEP_3)
	v_add_co_u32 v28, s0, v2, v0
	s_wait_alu 0xf1ff
	v_add_co_ci_u32_e64 v29, s0, v3, v1, s0
	s_clause 0x7
	global_load_b128 v[0:3], v[28:29], off
	global_load_b128 v[4:7], v[28:29], off offset:176
	global_load_b128 v[8:11], v[28:29], off offset:352
	;; [unrolled: 1-line block ×7, first 2 shown]
	s_wait_loadcnt 0x7
	ds_store_b128 v32, v[0:3]
	s_wait_loadcnt 0x6
	ds_store_b128 v32, v[4:7] offset:176
	s_wait_loadcnt 0x5
	ds_store_b128 v32, v[8:11] offset:352
	;; [unrolled: 2-line block ×7, first 2 shown]
.LBB0_10:
	s_wait_alu 0xfffe
	s_or_b32 exec_lo, exec_lo, s1
	v_add_nc_u32_e32 v45, 0, v57
	v_add_nc_u32_e32 v58, 0, v55
	global_wb scope:SCOPE_SE
	s_wait_dscnt 0x0
	s_barrier_signal -1
	s_barrier_wait -1
	v_add_nc_u32_e32 v54, v45, v55
	v_add_nc_u32_e32 v56, v58, v57
	global_inv scope:SCOPE_SE
	s_mov_b32 s30, exec_lo
	ds_load_b128 v[16:19], v54
	ds_load_b128 v[40:43], v56 offset:128
	ds_load_b128 v[36:39], v56 offset:256
	;; [unrolled: 1-line block ×10, first 2 shown]
	global_wb scope:SCOPE_SE
	s_wait_dscnt 0x0
	s_barrier_signal -1
	s_barrier_wait -1
	global_inv scope:SCOPE_SE
	v_cmpx_gt_u32_e32 8, v44
	s_cbranch_execz .LBB0_12
; %bb.11:
	v_add_f64_e32 v[50:51], v[18:19], v[42:43]
	v_add_f64_e32 v[52:53], v[16:17], v[40:41]
	v_add_f64_e64 v[61:62], v[40:41], -v[0:1]
	v_add_f64_e64 v[73:74], v[42:43], -v[2:3]
	;; [unrolled: 1-line block ×8, first 2 shown]
	v_add_f64_e32 v[81:82], v[34:35], v[10:11]
	v_add_f64_e32 v[83:84], v[32:33], v[8:9]
	s_mov_b32 s18, 0xbb3a28a1
	s_mov_b32 s20, 0xfd768dbf
	;; [unrolled: 1-line block ×4, first 2 shown]
	v_add_f64_e32 v[75:76], v[42:43], v[2:3]
	v_add_f64_e32 v[40:41], v[40:41], v[0:1]
	v_add_f64_e64 v[85:86], v[36:37], -v[4:5]
	v_add_f64_e32 v[87:88], v[38:39], v[6:7]
	s_mov_b32 s16, 0x43842ef
	s_mov_b32 s15, 0x3fed1bb4
	;; [unrolled: 1-line block ×7, first 2 shown]
	s_wait_alu 0xfffe
	s_mov_b32 s26, s22
	s_mov_b32 s12, 0x7f775887
	s_mov_b32 s2, 0x9bcd5057
	s_mov_b32 s13, 0xbfe4f49e
	s_mov_b32 s3, 0xbfeeb42a
	s_mov_b32 s25, 0x3fefac9e
	s_mov_b32 s29, 0x3fd207e7
	s_mov_b32 s24, s16
	s_mov_b32 s28, s20
	s_mov_b32 s0, 0x640f44db
	s_mov_b32 s1, 0xbfc2375f
	v_add_f64_e32 v[77:78], v[50:51], v[38:39]
	v_add_f64_e32 v[79:80], v[52:53], v[36:37]
	v_add_f64_e64 v[38:39], v[38:39], -v[6:7]
	v_mul_f64_e32 v[89:90], s[20:21], v[61:62]
	v_mul_f64_e32 v[91:92], s[18:19], v[61:62]
	;; [unrolled: 1-line block ×11, first 2 shown]
	s_wait_alu 0xfffe
	v_mul_f64_e32 v[95:96], s[26:27], v[61:62]
	v_mul_f64_e32 v[107:108], s[26:27], v[73:74]
	v_add_f64_e32 v[52:53], v[30:31], v[14:15]
	v_add_f64_e32 v[50:51], v[28:29], v[12:13]
	;; [unrolled: 1-line block ×3, first 2 shown]
	v_mul_f64_e32 v[137:138], s[22:23], v[85:86]
	v_mul_f64_e32 v[139:140], s[24:25], v[85:86]
	;; [unrolled: 1-line block ×4, first 2 shown]
	s_mov_b32 s10, 0xd9c712b6
	s_mov_b32 s6, 0x8764f0ba
	;; [unrolled: 1-line block ×4, first 2 shown]
	v_add_f64_e32 v[48:49], v[26:27], v[22:23]
	v_add_f64_e32 v[42:43], v[24:25], v[20:21]
	v_mul_f64_e32 v[119:120], s[18:19], v[69:70]
	v_mul_f64_e32 v[121:122], s[26:27], v[69:70]
	;; [unrolled: 1-line block ×9, first 2 shown]
	v_add_f64_e32 v[34:35], v[77:78], v[34:35]
	v_add_f64_e32 v[32:33], v[79:80], v[32:33]
	v_mul_f64_e32 v[77:78], s[14:15], v[71:72]
	s_mov_b32 s15, 0xbfed1bb4
	v_mul_f64_e32 v[145:146], s[22:23], v[38:39]
	s_wait_alu 0xfffe
	v_mul_f64_e32 v[61:62], s[14:15], v[61:62]
	v_mul_f64_e32 v[73:74], s[14:15], v[73:74]
	;; [unrolled: 1-line block ×6, first 2 shown]
	v_fma_f64 v[169:170], v[40:41], s[2:3], -v[97:98]
	v_fma_f64 v[97:98], v[40:41], s[2:3], v[97:98]
	v_fma_f64 v[171:172], v[40:41], s[12:13], -v[99:100]
	v_fma_f64 v[99:100], v[40:41], s[12:13], v[99:100]
	v_fma_f64 v[165:166], v[75:76], s[0:1], v[93:94]
	v_fma_f64 v[93:94], v[75:76], s[0:1], -v[93:94]
	v_fma_f64 v[173:174], v[40:41], s[0:1], -v[103:104]
	v_fma_f64 v[103:104], v[40:41], s[0:1], v[103:104]
	v_fma_f64 v[167:168], v[75:76], s[6:7], v[95:96]
	v_fma_f64 v[95:96], v[75:76], s[6:7], -v[95:96]
	v_fma_f64 v[175:176], v[40:41], s[6:7], -v[107:108]
	v_fma_f64 v[107:108], v[40:41], s[6:7], v[107:108]
	v_mul_f64_e32 v[71:72], s[16:17], v[71:72]
	v_fma_f64 v[189:190], v[87:88], s[6:7], v[137:138]
	v_fma_f64 v[137:138], v[87:88], s[6:7], -v[137:138]
	v_fma_f64 v[191:192], v[87:88], s[0:1], v[139:140]
	v_mul_f64_e32 v[79:80], s[26:27], v[59:60]
	v_mul_f64_e32 v[59:60], s[18:19], v[59:60]
	;; [unrolled: 1-line block ×3, first 2 shown]
	v_fma_f64 v[185:186], v[81:82], s[12:13], v[119:120]
	v_fma_f64 v[119:120], v[81:82], s[12:13], -v[119:120]
	v_fma_f64 v[187:188], v[81:82], s[6:7], v[121:122]
	v_fma_f64 v[121:122], v[81:82], s[6:7], -v[121:122]
	v_mul_f64_e32 v[133:134], s[26:27], v[63:64]
	v_fma_f64 v[203:204], v[83:84], s[2:3], -v[129:130]
	v_fma_f64 v[129:130], v[83:84], s[2:3], v[129:130]
	v_mul_f64_e32 v[135:136], s[24:25], v[63:64]
	v_add_f64_e32 v[30:31], v[34:35], v[30:31]
	v_add_f64_e32 v[28:29], v[32:33], v[28:29]
	v_mul_f64_e32 v[32:33], s[14:15], v[38:39]
	v_fma_f64 v[34:35], v[75:76], s[2:3], v[89:90]
	v_fma_f64 v[38:39], v[75:76], s[2:3], -v[89:90]
	v_fma_f64 v[89:90], v[75:76], s[12:13], v[91:92]
	v_fma_f64 v[91:92], v[75:76], s[12:13], -v[91:92]
	v_fma_f64 v[193:194], v[75:76], s[10:11], -v[61:62]
	v_fma_f64 v[195:196], v[40:41], s[10:11], v[73:74]
	v_fma_f64 v[61:62], v[75:76], s[10:11], v[61:62]
	v_fma_f64 v[40:41], v[40:41], s[10:11], -v[73:74]
	v_fma_f64 v[73:74], v[87:88], s[2:3], -v[141:142]
	v_fma_f64 v[75:76], v[87:88], s[12:13], v[143:144]
	v_fma_f64 v[197:198], v[36:37], s[2:3], -v[149:150]
	v_fma_f64 v[149:150], v[36:37], s[2:3], v[149:150]
	v_fma_f64 v[199:200], v[36:37], s[12:13], -v[151:152]
	v_fma_f64 v[151:152], v[36:37], s[12:13], v[151:152]
	v_fma_f64 v[201:202], v[87:88], s[10:11], v[85:86]
	v_fma_f64 v[85:86], v[87:88], s[10:11], -v[85:86]
	v_add_f64_e32 v[97:98], v[16:17], v[97:98]
	v_add_f64_e32 v[99:100], v[16:17], v[99:100]
	;; [unrolled: 1-line block ×8, first 2 shown]
	v_fma_f64 v[205:206], v[83:84], s[0:1], -v[71:72]
	v_fma_f64 v[71:72], v[83:84], s[0:1], v[71:72]
	v_mul_f64_e32 v[63:64], s[18:19], v[63:64]
	v_mul_f64_e32 v[153:154], s[16:17], v[65:66]
	;; [unrolled: 1-line block ×9, first 2 shown]
	v_add_f64_e32 v[26:27], v[30:31], v[26:27]
	v_add_f64_e32 v[24:25], v[28:29], v[24:25]
	v_fma_f64 v[28:29], v[87:88], s[0:1], -v[139:140]
	v_fma_f64 v[30:31], v[87:88], s[2:3], v[141:142]
	v_fma_f64 v[139:140], v[87:88], s[12:13], -v[143:144]
	v_fma_f64 v[141:142], v[36:37], s[6:7], -v[145:146]
	v_fma_f64 v[143:144], v[36:37], s[6:7], v[145:146]
	v_fma_f64 v[145:146], v[36:37], s[0:1], -v[147:148]
	v_fma_f64 v[147:148], v[36:37], s[0:1], v[147:148]
	v_fma_f64 v[87:88], v[36:37], s[10:11], v[32:33]
	v_fma_f64 v[32:33], v[36:37], s[10:11], -v[32:33]
	v_add_f64_e32 v[36:37], v[16:17], v[169:170]
	v_add_f64_e32 v[38:39], v[18:19], v[38:39]
	v_add_f64_e32 v[91:92], v[18:19], v[91:92]
	v_add_f64_e32 v[34:35], v[18:19], v[34:35]
	v_add_f64_e32 v[89:90], v[18:19], v[89:90]
	v_add_f64_e32 v[169:170], v[16:17], v[171:172]
	v_add_f64_e32 v[171:172], v[16:17], v[173:174]
	v_add_f64_e32 v[173:174], v[18:19], v[193:194]
	v_add_f64_e32 v[193:194], v[16:17], v[195:196]
	v_add_f64_e32 v[18:19], v[18:19], v[61:62]
	v_add_f64_e32 v[40:41], v[16:17], v[40:41]
	v_add_f64_e32 v[16:17], v[16:17], v[175:176]
	v_fma_f64 v[61:62], v[81:82], s[2:3], v[123:124]
	v_fma_f64 v[175:176], v[83:84], s[6:7], -v[127:128]
	v_fma_f64 v[127:128], v[83:84], s[6:7], v[127:128]
	v_fma_f64 v[195:196], v[83:84], s[10:11], -v[77:78]
	v_fma_f64 v[77:78], v[83:84], s[10:11], v[77:78]
	v_add_f64_e32 v[73:74], v[73:74], v[93:94]
	v_add_f64_e32 v[93:94], v[149:150], v[103:104]
	;; [unrolled: 1-line block ×4, first 2 shown]
	v_fma_f64 v[177:178], v[52:53], s[10:11], v[101:102]
	v_fma_f64 v[101:102], v[52:53], s[10:11], -v[101:102]
	v_fma_f64 v[179:180], v[52:53], s[2:3], v[115:116]
	v_fma_f64 v[115:116], v[52:53], s[2:3], -v[115:116]
	;; [unrolled: 2-line block ×3, first 2 shown]
	v_add_f64_e32 v[22:23], v[26:27], v[22:23]
	v_add_f64_e32 v[20:21], v[24:25], v[20:21]
	v_fma_f64 v[24:25], v[81:82], s[10:11], v[113:114]
	v_fma_f64 v[26:27], v[81:82], s[10:11], -v[113:114]
	v_fma_f64 v[113:114], v[81:82], s[2:3], -v[123:124]
	v_fma_f64 v[123:124], v[81:82], s[0:1], v[69:70]
	v_fma_f64 v[69:70], v[81:82], s[0:1], -v[69:70]
	v_fma_f64 v[81:82], v[83:84], s[12:13], -v[125:126]
	v_fma_f64 v[125:126], v[83:84], s[12:13], v[125:126]
	v_add_f64_e32 v[83:84], v[143:144], v[97:98]
	v_add_f64_e32 v[30:31], v[30:31], v[165:166]
	;; [unrolled: 1-line block ×16, first 2 shown]
	v_fma_f64 v[183:184], v[52:53], s[0:1], v[117:118]
	v_fma_f64 v[117:118], v[52:53], s[0:1], -v[117:118]
	v_fma_f64 v[32:33], v[50:51], s[10:11], -v[105:106]
	v_fma_f64 v[75:76], v[50:51], s[2:3], v[131:132]
	v_fma_f64 v[137:138], v[50:51], s[12:13], -v[63:64]
	v_fma_f64 v[139:140], v[48:49], s[0:1], -v[153:154]
	v_fma_f64 v[141:142], v[48:49], s[10:11], v[109:110]
	v_fma_f64 v[109:110], v[48:49], s[10:11], -v[109:110]
	v_add_f64_e32 v[14:15], v[22:23], v[14:15]
	v_add_f64_e32 v[12:13], v[20:21], v[12:13]
	v_fma_f64 v[20:21], v[52:53], s[12:13], v[59:60]
	v_fma_f64 v[22:23], v[52:53], s[12:13], -v[59:60]
	v_fma_f64 v[52:53], v[50:51], s[10:11], v[105:106]
	v_fma_f64 v[59:60], v[50:51], s[2:3], -v[131:132]
	v_fma_f64 v[131:132], v[50:51], s[6:7], v[133:134]
	v_add_f64_e32 v[26:27], v[26:27], v[73:74]
	v_add_f64_e32 v[73:74], v[77:78], v[93:94]
	v_fma_f64 v[105:106], v[50:51], s[6:7], -v[133:134]
	v_add_f64_e32 v[24:25], v[24:25], v[30:31]
	v_add_f64_e32 v[36:37], v[81:82], v[36:37]
	;; [unrolled: 1-line block ×9, first 2 shown]
	v_fma_f64 v[133:134], v[50:51], s[0:1], -v[135:136]
	v_fma_f64 v[135:136], v[50:51], s[0:1], v[135:136]
	v_fma_f64 v[50:51], v[50:51], s[12:13], v[63:64]
	v_add_f64_e32 v[77:78], v[123:124], v[103:104]
	v_add_f64_e32 v[69:70], v[69:70], v[85:86]
	v_add_f64_e32 v[71:72], v[71:72], v[87:88]
	v_add_f64_e32 v[85:86], v[113:114], v[95:96]
	v_add_f64_e32 v[87:88], v[129:130], v[107:108]
	v_add_f64_e32 v[30:31], v[195:196], v[99:100]
	v_add_f64_e32 v[18:19], v[61:62], v[18:19]
	v_add_f64_e32 v[40:41], v[203:204], v[40:41]
	v_fma_f64 v[63:64], v[48:49], s[0:1], v[153:154]
	v_fma_f64 v[61:62], v[48:49], s[12:13], v[155:156]
	v_fma_f64 v[93:94], v[48:49], s[12:13], -v[155:156]
	v_fma_f64 v[95:96], v[48:49], s[6:7], v[157:158]
	v_fma_f64 v[97:98], v[48:49], s[6:7], -v[157:158]
	;; [unrolled: 2-line block ×3, first 2 shown]
	v_fma_f64 v[65:66], v[42:43], s[10:11], -v[111:112]
	v_add_f64_e32 v[10:11], v[14:15], v[10:11]
	v_add_f64_e32 v[8:9], v[12:13], v[8:9]
	;; [unrolled: 1-line block ×3, first 2 shown]
	v_fma_f64 v[14:15], v[42:43], s[0:1], -v[159:160]
	v_fma_f64 v[16:17], v[42:43], s[0:1], v[159:160]
	v_fma_f64 v[103:104], v[42:43], s[10:11], v[111:112]
	v_fma_f64 v[107:108], v[42:43], s[12:13], -v[161:162]
	v_fma_f64 v[111:112], v[42:43], s[12:13], v[161:162]
	v_fma_f64 v[113:114], v[42:43], s[6:7], v[163:164]
	v_fma_f64 v[119:120], v[42:43], s[6:7], -v[163:164]
	v_fma_f64 v[121:122], v[42:43], s[2:3], -v[67:68]
	v_fma_f64 v[42:43], v[42:43], s[2:3], v[67:68]
	v_add_f64_e32 v[32:33], v[32:33], v[36:37]
	v_add_f64_e32 v[36:37], v[101:102], v[38:39]
	v_add_f64_e32 v[38:39], v[52:53], v[81:82]
	v_add_f64_e32 v[28:29], v[115:116], v[28:29]
	v_add_f64_e32 v[67:68], v[75:76], v[91:92]
	v_add_f64_e32 v[34:35], v[177:178], v[34:35]
	v_add_f64_e32 v[52:53], v[179:180], v[83:84]
	v_add_f64_e32 v[59:60], v[59:60], v[89:90]
	v_add_f64_e32 v[24:25], v[181:182], v[24:25]
	v_add_f64_e32 v[26:27], v[79:80], v[26:27]
	v_add_f64_e32 v[73:74], v[131:132], v[73:74]
	v_add_f64_e32 v[75:76], v[20:21], v[77:78]
	v_add_f64_e32 v[50:51], v[50:51], v[71:72]
	v_add_f64_e32 v[71:72], v[117:118], v[85:86]
	v_add_f64_e32 v[77:78], v[135:136], v[87:88]
	v_add_f64_e32 v[30:31], v[105:106], v[30:31]
	v_add_f64_e32 v[79:80], v[183:184], v[18:19]
	v_add_f64_e32 v[40:41], v[133:134], v[40:41]
	v_add_f64_e32 v[69:70], v[22:23], v[69:70]
	v_add_f64_e32 v[81:82], v[10:11], v[6:7]
	v_add_f64_e32 v[83:84], v[8:9], v[4:5]
	v_add_f64_e32 v[85:86], v[137:138], v[12:13]
	v_add_f64_e32 v[4:5], v[14:15], v[32:33]
	v_add_f64_e32 v[10:11], v[139:140], v[36:37]
	v_add_f64_e32 v[8:9], v[16:17], v[38:39]
	v_add_f64_e32 v[18:19], v[109:110], v[28:29]
	v_add_f64_e32 v[16:17], v[103:104], v[67:68]
	v_add_f64_e32 v[6:7], v[63:64], v[34:35]
	v_add_f64_e32 v[14:15], v[141:142], v[52:53]
	v_add_f64_e32 v[12:13], v[65:66], v[59:60]
	v_add_f64_e32 v[22:23], v[61:62], v[24:25]
	v_add_f64_e32 v[26:27], v[93:94], v[26:27]
	v_add_f64_e32 v[24:25], v[111:112], v[73:74]
	v_add_f64_e32 v[32:33], v[42:43], v[50:51]
	v_add_f64_e32 v[38:39], v[97:98], v[71:72]
	v_add_f64_e32 v[36:37], v[113:114], v[77:78]
	v_add_f64_e32 v[20:21], v[107:108], v[30:31]
	v_add_f64_e32 v[42:43], v[95:96], v[79:80]
	v_add_f64_e32 v[40:41], v[119:120], v[40:41]
	v_add_f64_e32 v[34:35], v[48:49], v[69:70]
	v_add_f64_e32 v[30:31], v[99:100], v[75:76]
	v_mul_u32_u24_e32 v48, 0xa0, v44
	s_delay_alu instid0(VALU_DEP_1)
	v_add3_u32 v48, v58, v48, v57
	v_add_f64_e32 v[2:3], v[81:82], v[2:3]
	v_add_f64_e32 v[0:1], v[83:84], v[0:1]
	;; [unrolled: 1-line block ×3, first 2 shown]
	ds_store_b128 v48, v[16:19] offset:64
	ds_store_b128 v48, v[8:11] offset:80
	;; [unrolled: 1-line block ×9, first 2 shown]
	ds_store_b128 v48, v[0:3]
	ds_store_b128 v48, v[28:31] offset:160
.LBB0_12:
	s_or_b32 exec_lo, exec_lo, s30
	v_mul_u32_u24_e32 v0, 7, v44
	global_wb scope:SCOPE_SE
	s_wait_dscnt 0x0
	s_barrier_signal -1
	s_barrier_wait -1
	global_inv scope:SCOPE_SE
	v_lshlrev_b32_e32 v24, 4, v0
	s_mov_b32 s0, 0x667f3bcd
	s_mov_b32 s1, 0xbfe6a09e
	;; [unrolled: 1-line block ×3, first 2 shown]
	s_wait_alu 0xfffe
	s_mov_b32 s2, s0
	s_clause 0x6
	global_load_b128 v[0:3], v24, s[4:5]
	global_load_b128 v[4:7], v24, s[4:5] offset:16
	global_load_b128 v[8:11], v24, s[4:5] offset:48
	;; [unrolled: 1-line block ×6, first 2 shown]
	ds_load_b128 v[28:31], v56 offset:176
	ds_load_b128 v[32:35], v56 offset:352
	;; [unrolled: 1-line block ×7, first 2 shown]
	s_wait_loadcnt_dscnt 0x606
	v_mul_f64_e32 v[52:53], v[30:31], v[2:3]
	v_mul_f64_e32 v[2:3], v[28:29], v[2:3]
	s_wait_loadcnt_dscnt 0x505
	v_mul_f64_e32 v[65:66], v[34:35], v[6:7]
	v_mul_f64_e32 v[6:7], v[32:33], v[6:7]
	;; [unrolled: 3-line block ×7, first 2 shown]
	v_fma_f64 v[28:29], v[28:29], v[0:1], v[52:53]
	v_fma_f64 v[30:31], v[30:31], v[0:1], -v[2:3]
	v_fma_f64 v[32:33], v[32:33], v[4:5], v[65:66]
	v_fma_f64 v[4:5], v[34:35], v[4:5], -v[6:7]
	;; [unrolled: 2-line block ×7, first 2 shown]
	ds_load_b128 v[0:3], v54
	global_wb scope:SCOPE_SE
	s_wait_dscnt 0x0
	s_barrier_signal -1
	s_barrier_wait -1
	global_inv scope:SCOPE_SE
	v_add_f64_e64 v[6:7], v[0:1], -v[6:7]
	v_add_f64_e64 v[8:9], v[2:3], -v[8:9]
	;; [unrolled: 1-line block ×8, first 2 shown]
	v_fma_f64 v[0:1], v[0:1], 2.0, -v[6:7]
	v_fma_f64 v[2:3], v[2:3], 2.0, -v[8:9]
	;; [unrolled: 1-line block ×6, first 2 shown]
	v_add_f64_e32 v[32:33], v[6:7], v[12:13]
	v_add_f64_e64 v[34:35], v[8:9], -v[10:11]
	v_fma_f64 v[10:11], v[18:19], 2.0, -v[22:23]
	v_fma_f64 v[12:13], v[20:21], 2.0, -v[24:25]
	v_add_f64_e32 v[18:19], v[14:15], v[24:25]
	v_add_f64_e64 v[20:21], v[16:17], -v[22:23]
	v_add_f64_e64 v[22:23], v[0:1], -v[26:27]
	;; [unrolled: 1-line block ×3, first 2 shown]
	v_fma_f64 v[36:37], v[6:7], 2.0, -v[32:33]
	v_fma_f64 v[38:39], v[8:9], 2.0, -v[34:35]
	v_add_f64_e64 v[4:5], v[28:29], -v[10:11]
	v_add_f64_e64 v[6:7], v[30:31], -v[12:13]
	v_fma_f64 v[14:15], v[14:15], 2.0, -v[18:19]
	v_fma_f64 v[12:13], v[16:17], 2.0, -v[20:21]
	s_wait_alu 0xfffe
	v_fma_f64 v[8:9], v[18:19], s[2:3], v[32:33]
	v_fma_f64 v[10:11], v[20:21], s[2:3], v[34:35]
	v_fma_f64 v[26:27], v[0:1], 2.0, -v[22:23]
	v_fma_f64 v[40:41], v[2:3], 2.0, -v[24:25]
	;; [unrolled: 1-line block ×4, first 2 shown]
	v_fma_f64 v[30:31], v[14:15], s[0:1], v[36:37]
	v_fma_f64 v[42:43], v[12:13], s[0:1], v[38:39]
	v_add_f64_e32 v[0:1], v[22:23], v[6:7]
	v_add_f64_e64 v[2:3], v[24:25], -v[4:5]
	v_fma_f64 v[4:5], v[20:21], s[2:3], v[8:9]
	v_fma_f64 v[6:7], v[18:19], s[0:1], v[10:11]
	v_add_f64_e64 v[8:9], v[26:27], -v[16:17]
	v_add_f64_e64 v[10:11], v[40:41], -v[28:29]
	v_fma_f64 v[12:13], v[12:13], s[2:3], v[30:31]
	v_fma_f64 v[14:15], v[14:15], s[0:1], v[42:43]
	v_fma_f64 v[16:17], v[22:23], 2.0, -v[0:1]
	v_fma_f64 v[18:19], v[24:25], 2.0, -v[2:3]
	;; [unrolled: 1-line block ×4, first 2 shown]
	s_mov_b32 s1, exec_lo
	v_fma_f64 v[24:25], v[26:27], 2.0, -v[8:9]
	v_fma_f64 v[26:27], v[40:41], 2.0, -v[10:11]
	v_fma_f64 v[28:29], v[36:37], 2.0, -v[12:13]
	v_fma_f64 v[30:31], v[38:39], 2.0, -v[14:15]
	ds_store_b128 v56, v[0:3] offset:1056
	ds_store_b128 v56, v[4:7] offset:1232
	;; [unrolled: 1-line block ×6, first 2 shown]
	ds_store_b128 v56, v[24:27]
	ds_store_b128 v56, v[28:31] offset:176
	global_wb scope:SCOPE_SE
	s_wait_dscnt 0x0
	s_barrier_signal -1
	s_barrier_wait -1
	global_inv scope:SCOPE_SE
	ds_load_b128 v[4:7], v54
	v_sub_nc_u32_e32 v14, v45, v55
                                        ; implicit-def: $vgpr0_vgpr1
                                        ; implicit-def: $vgpr8_vgpr9
                                        ; implicit-def: $vgpr10_vgpr11
                                        ; implicit-def: $vgpr12_vgpr13
	v_cmpx_ne_u32_e32 0, v44
	s_wait_alu 0xfffe
	s_xor_b32 s1, exec_lo, s1
	s_cbranch_execz .LBB0_14
; %bb.13:
	v_mov_b32_e32 v45, 0
	s_delay_alu instid0(VALU_DEP_1) | instskip(NEXT) | instid1(VALU_DEP_1)
	v_lshlrev_b64_e32 v[0:1], 4, v[44:45]
	v_add_co_u32 v0, s0, s4, v0
	s_wait_alu 0xf1ff
	s_delay_alu instid0(VALU_DEP_2)
	v_add_co_ci_u32_e64 v1, s0, s5, v1, s0
	global_load_b128 v[15:18], v[0:1], off offset:1232
	ds_load_b128 v[0:3], v14 offset:1408
	s_wait_dscnt 0x0
	v_add_f64_e64 v[8:9], v[4:5], -v[0:1]
	v_add_f64_e32 v[10:11], v[6:7], v[2:3]
	v_add_f64_e64 v[2:3], v[6:7], -v[2:3]
	v_add_f64_e32 v[0:1], v[4:5], v[0:1]
	s_delay_alu instid0(VALU_DEP_4) | instskip(NEXT) | instid1(VALU_DEP_4)
	v_mul_f64_e32 v[6:7], 0.5, v[8:9]
	v_mul_f64_e32 v[4:5], 0.5, v[10:11]
	s_delay_alu instid0(VALU_DEP_4) | instskip(SKIP_1) | instid1(VALU_DEP_3)
	v_mul_f64_e32 v[2:3], 0.5, v[2:3]
	s_wait_loadcnt 0x0
	v_mul_f64_e32 v[8:9], v[6:7], v[17:18]
	s_delay_alu instid0(VALU_DEP_2) | instskip(SKIP_1) | instid1(VALU_DEP_3)
	v_fma_f64 v[10:11], v[4:5], v[17:18], v[2:3]
	v_fma_f64 v[2:3], v[4:5], v[17:18], -v[2:3]
	v_fma_f64 v[12:13], v[0:1], 0.5, v[8:9]
	v_fma_f64 v[0:1], v[0:1], 0.5, -v[8:9]
	s_delay_alu instid0(VALU_DEP_4) | instskip(NEXT) | instid1(VALU_DEP_4)
	v_fma_f64 v[10:11], -v[15:16], v[6:7], v[10:11]
	v_fma_f64 v[2:3], -v[15:16], v[6:7], v[2:3]
	s_delay_alu instid0(VALU_DEP_4) | instskip(NEXT) | instid1(VALU_DEP_4)
	v_fma_f64 v[8:9], v[4:5], v[15:16], v[12:13]
	v_fma_f64 v[0:1], -v[4:5], v[15:16], v[0:1]
	v_dual_mov_b32 v12, v44 :: v_dual_mov_b32 v13, v45
                                        ; implicit-def: $vgpr4_vgpr5
                                        ; implicit-def: $vgpr45
.LBB0_14:
	s_wait_alu 0xfffe
	s_and_not1_saveexec_b32 s0, s1
	s_cbranch_execz .LBB0_16
; %bb.15:
	s_wait_dscnt 0x0
	v_add_f64_e32 v[8:9], v[4:5], v[6:7]
	v_add_f64_e64 v[0:1], v[4:5], -v[6:7]
	ds_load_b64 v[4:5], v45 offset:712
	v_mov_b32_e32 v10, 0
	v_dual_mov_b32 v11, 0 :: v_dual_mov_b32 v12, 0
	s_delay_alu instid0(VALU_DEP_2) | instskip(NEXT) | instid1(VALU_DEP_2)
	v_dual_mov_b32 v13, 0 :: v_dual_mov_b32 v2, v10
	v_mov_b32_e32 v3, v11
	s_wait_dscnt 0x0
	v_xor_b32_e32 v5, 0x80000000, v5
	ds_store_b64 v45, v[4:5] offset:712
.LBB0_16:
	s_wait_alu 0xfffe
	s_or_b32 exec_lo, exec_lo, s0
	s_wait_dscnt 0x0
	v_lshlrev_b64_e32 v[4:5], 4, v[12:13]
	s_add_nc_u64 s[0:1], s[4:5], 0x4d0
	s_wait_alu 0xfffe
	s_delay_alu instid0(VALU_DEP_1) | instskip(SKIP_1) | instid1(VALU_DEP_2)
	v_add_co_u32 v12, s0, s0, v4
	s_wait_alu 0xf1ff
	v_add_co_ci_u32_e64 v13, s0, s1, v5, s0
	s_clause 0x1
	global_load_b128 v[15:18], v[12:13], off offset:176
	global_load_b128 v[19:22], v[12:13], off offset:352
	ds_store_2addr_b64 v54, v[8:9], v[10:11] offset1:1
	ds_store_b128 v14, v[0:3] offset:1408
	ds_load_b128 v[0:3], v54 offset:176
	ds_load_b128 v[6:9], v14 offset:1232
	s_wait_dscnt 0x0
	v_add_f64_e64 v[10:11], v[0:1], -v[6:7]
	v_add_f64_e32 v[23:24], v[2:3], v[8:9]
	v_add_f64_e64 v[2:3], v[2:3], -v[8:9]
	v_add_f64_e32 v[0:1], v[0:1], v[6:7]
	s_delay_alu instid0(VALU_DEP_4) | instskip(NEXT) | instid1(VALU_DEP_4)
	v_mul_f64_e32 v[8:9], 0.5, v[10:11]
	v_mul_f64_e32 v[10:11], 0.5, v[23:24]
	s_delay_alu instid0(VALU_DEP_4) | instskip(SKIP_1) | instid1(VALU_DEP_3)
	v_mul_f64_e32 v[2:3], 0.5, v[2:3]
	s_wait_loadcnt 0x1
	v_mul_f64_e32 v[6:7], v[8:9], v[17:18]
	s_delay_alu instid0(VALU_DEP_2) | instskip(SKIP_1) | instid1(VALU_DEP_3)
	v_fma_f64 v[23:24], v[10:11], v[17:18], v[2:3]
	v_fma_f64 v[2:3], v[10:11], v[17:18], -v[2:3]
	v_fma_f64 v[17:18], v[0:1], 0.5, v[6:7]
	v_fma_f64 v[0:1], v[0:1], 0.5, -v[6:7]
	s_delay_alu instid0(VALU_DEP_4) | instskip(NEXT) | instid1(VALU_DEP_4)
	v_fma_f64 v[23:24], -v[15:16], v[8:9], v[23:24]
	v_fma_f64 v[2:3], -v[15:16], v[8:9], v[2:3]
	global_load_b128 v[6:9], v[12:13], off offset:528
	v_fma_f64 v[17:18], v[10:11], v[15:16], v[17:18]
	v_fma_f64 v[0:1], -v[10:11], v[15:16], v[0:1]
	ds_store_2addr_b64 v54, v[17:18], v[23:24] offset0:22 offset1:23
	ds_store_b128 v14, v[0:3] offset:1232
	ds_load_b128 v[0:3], v54 offset:352
	ds_load_b128 v[10:13], v14 offset:1056
	s_wait_dscnt 0x0
	v_add_f64_e64 v[15:16], v[0:1], -v[10:11]
	v_add_f64_e32 v[17:18], v[2:3], v[12:13]
	v_add_f64_e64 v[2:3], v[2:3], -v[12:13]
	v_add_f64_e32 v[0:1], v[0:1], v[10:11]
	s_delay_alu instid0(VALU_DEP_4) | instskip(NEXT) | instid1(VALU_DEP_4)
	v_mul_f64_e32 v[12:13], 0.5, v[15:16]
	v_mul_f64_e32 v[15:16], 0.5, v[17:18]
	s_delay_alu instid0(VALU_DEP_4) | instskip(SKIP_1) | instid1(VALU_DEP_3)
	v_mul_f64_e32 v[2:3], 0.5, v[2:3]
	s_wait_loadcnt 0x1
	v_mul_f64_e32 v[10:11], v[12:13], v[21:22]
	s_delay_alu instid0(VALU_DEP_2) | instskip(SKIP_1) | instid1(VALU_DEP_3)
	v_fma_f64 v[17:18], v[15:16], v[21:22], v[2:3]
	v_fma_f64 v[2:3], v[15:16], v[21:22], -v[2:3]
	v_fma_f64 v[21:22], v[0:1], 0.5, v[10:11]
	v_fma_f64 v[0:1], v[0:1], 0.5, -v[10:11]
	s_delay_alu instid0(VALU_DEP_4) | instskip(NEXT) | instid1(VALU_DEP_4)
	v_fma_f64 v[10:11], -v[19:20], v[12:13], v[17:18]
	v_fma_f64 v[2:3], -v[19:20], v[12:13], v[2:3]
	s_delay_alu instid0(VALU_DEP_4) | instskip(NEXT) | instid1(VALU_DEP_4)
	v_fma_f64 v[12:13], v[15:16], v[19:20], v[21:22]
	v_fma_f64 v[0:1], -v[15:16], v[19:20], v[0:1]
	ds_store_2addr_b64 v54, v[12:13], v[10:11] offset0:44 offset1:45
	ds_store_b128 v14, v[0:3] offset:1056
	ds_load_b128 v[0:3], v54 offset:528
	ds_load_b128 v[10:13], v14 offset:880
	s_wait_dscnt 0x0
	v_add_f64_e64 v[15:16], v[0:1], -v[10:11]
	v_add_f64_e32 v[17:18], v[2:3], v[12:13]
	v_add_f64_e64 v[2:3], v[2:3], -v[12:13]
	v_add_f64_e32 v[0:1], v[0:1], v[10:11]
	s_delay_alu instid0(VALU_DEP_4) | instskip(NEXT) | instid1(VALU_DEP_4)
	v_mul_f64_e32 v[12:13], 0.5, v[15:16]
	v_mul_f64_e32 v[15:16], 0.5, v[17:18]
	s_delay_alu instid0(VALU_DEP_4) | instskip(SKIP_1) | instid1(VALU_DEP_3)
	v_mul_f64_e32 v[2:3], 0.5, v[2:3]
	s_wait_loadcnt 0x0
	v_mul_f64_e32 v[10:11], v[12:13], v[8:9]
	s_delay_alu instid0(VALU_DEP_2) | instskip(SKIP_1) | instid1(VALU_DEP_3)
	v_fma_f64 v[17:18], v[15:16], v[8:9], v[2:3]
	v_fma_f64 v[2:3], v[15:16], v[8:9], -v[2:3]
	v_fma_f64 v[8:9], v[0:1], 0.5, v[10:11]
	v_fma_f64 v[0:1], v[0:1], 0.5, -v[10:11]
	s_delay_alu instid0(VALU_DEP_4) | instskip(NEXT) | instid1(VALU_DEP_4)
	v_fma_f64 v[10:11], -v[6:7], v[12:13], v[17:18]
	v_fma_f64 v[2:3], -v[6:7], v[12:13], v[2:3]
	s_delay_alu instid0(VALU_DEP_4) | instskip(NEXT) | instid1(VALU_DEP_4)
	v_fma_f64 v[8:9], v[15:16], v[6:7], v[8:9]
	v_fma_f64 v[0:1], -v[15:16], v[6:7], v[0:1]
	ds_store_2addr_b64 v54, v[8:9], v[10:11] offset0:66 offset1:67
	ds_store_b128 v14, v[0:3] offset:880
	global_wb scope:SCOPE_SE
	s_wait_dscnt 0x0
	s_barrier_signal -1
	s_barrier_wait -1
	global_inv scope:SCOPE_SE
	s_and_saveexec_b32 s0, vcc_lo
	s_cbranch_execz .LBB0_19
; %bb.17:
	ds_load_b128 v[6:9], v54
	ds_load_b128 v[10:13], v54 offset:176
	ds_load_b128 v[14:17], v54 offset:352
	;; [unrolled: 1-line block ×7, first 2 shown]
	v_add_co_u32 v0, vcc_lo, s8, v46
	s_wait_alu 0xfffd
	v_add_co_ci_u32_e32 v1, vcc_lo, s9, v47, vcc_lo
	s_delay_alu instid0(VALU_DEP_2) | instskip(SKIP_1) | instid1(VALU_DEP_2)
	v_add_co_u32 v2, vcc_lo, v0, v4
	s_wait_alu 0xfffd
	v_add_co_ci_u32_e32 v3, vcc_lo, v1, v5, vcc_lo
	v_cmp_eq_u32_e32 vcc_lo, 10, v44
	s_wait_dscnt 0x7
	global_store_b128 v[2:3], v[6:9], off
	s_wait_dscnt 0x6
	global_store_b128 v[2:3], v[10:13], off offset:176
	s_wait_dscnt 0x5
	global_store_b128 v[2:3], v[14:17], off offset:352
	;; [unrolled: 2-line block ×7, first 2 shown]
	s_and_b32 exec_lo, exec_lo, vcc_lo
	s_cbranch_execz .LBB0_19
; %bb.18:
	ds_load_b128 v[2:5], v54 offset:1248
	s_wait_dscnt 0x0
	global_store_b128 v[0:1], v[2:5], off offset:1408
.LBB0_19:
	s_nop 0
	s_sendmsg sendmsg(MSG_DEALLOC_VGPRS)
	s_endpgm
	.section	.rodata,"a",@progbits
	.p2align	6, 0x0
	.amdhsa_kernel fft_rtc_back_len88_factors_11_8_wgs_121_tpt_11_halfLds_dp_ip_CI_unitstride_sbrr_R2C_dirReg
		.amdhsa_group_segment_fixed_size 0
		.amdhsa_private_segment_fixed_size 0
		.amdhsa_kernarg_size 88
		.amdhsa_user_sgpr_count 2
		.amdhsa_user_sgpr_dispatch_ptr 0
		.amdhsa_user_sgpr_queue_ptr 0
		.amdhsa_user_sgpr_kernarg_segment_ptr 1
		.amdhsa_user_sgpr_dispatch_id 0
		.amdhsa_user_sgpr_private_segment_size 0
		.amdhsa_wavefront_size32 1
		.amdhsa_uses_dynamic_stack 0
		.amdhsa_enable_private_segment 0
		.amdhsa_system_sgpr_workgroup_id_x 1
		.amdhsa_system_sgpr_workgroup_id_y 0
		.amdhsa_system_sgpr_workgroup_id_z 0
		.amdhsa_system_sgpr_workgroup_info 0
		.amdhsa_system_vgpr_workitem_id 0
		.amdhsa_next_free_vgpr 207
		.amdhsa_next_free_sgpr 32
		.amdhsa_reserve_vcc 1
		.amdhsa_float_round_mode_32 0
		.amdhsa_float_round_mode_16_64 0
		.amdhsa_float_denorm_mode_32 3
		.amdhsa_float_denorm_mode_16_64 3
		.amdhsa_fp16_overflow 0
		.amdhsa_workgroup_processor_mode 1
		.amdhsa_memory_ordered 1
		.amdhsa_forward_progress 0
		.amdhsa_round_robin_scheduling 0
		.amdhsa_exception_fp_ieee_invalid_op 0
		.amdhsa_exception_fp_denorm_src 0
		.amdhsa_exception_fp_ieee_div_zero 0
		.amdhsa_exception_fp_ieee_overflow 0
		.amdhsa_exception_fp_ieee_underflow 0
		.amdhsa_exception_fp_ieee_inexact 0
		.amdhsa_exception_int_div_zero 0
	.end_amdhsa_kernel
	.text
.Lfunc_end0:
	.size	fft_rtc_back_len88_factors_11_8_wgs_121_tpt_11_halfLds_dp_ip_CI_unitstride_sbrr_R2C_dirReg, .Lfunc_end0-fft_rtc_back_len88_factors_11_8_wgs_121_tpt_11_halfLds_dp_ip_CI_unitstride_sbrr_R2C_dirReg
                                        ; -- End function
	.section	.AMDGPU.csdata,"",@progbits
; Kernel info:
; codeLenInByte = 5920
; NumSgprs: 34
; NumVgprs: 207
; ScratchSize: 0
; MemoryBound: 0
; FloatMode: 240
; IeeeMode: 1
; LDSByteSize: 0 bytes/workgroup (compile time only)
; SGPRBlocks: 4
; VGPRBlocks: 25
; NumSGPRsForWavesPerEU: 34
; NumVGPRsForWavesPerEU: 207
; Occupancy: 7
; WaveLimiterHint : 1
; COMPUTE_PGM_RSRC2:SCRATCH_EN: 0
; COMPUTE_PGM_RSRC2:USER_SGPR: 2
; COMPUTE_PGM_RSRC2:TRAP_HANDLER: 0
; COMPUTE_PGM_RSRC2:TGID_X_EN: 1
; COMPUTE_PGM_RSRC2:TGID_Y_EN: 0
; COMPUTE_PGM_RSRC2:TGID_Z_EN: 0
; COMPUTE_PGM_RSRC2:TIDIG_COMP_CNT: 0
	.text
	.p2alignl 7, 3214868480
	.fill 96, 4, 3214868480
	.type	__hip_cuid_ba0cfd3b2fe9da9,@object ; @__hip_cuid_ba0cfd3b2fe9da9
	.section	.bss,"aw",@nobits
	.globl	__hip_cuid_ba0cfd3b2fe9da9
__hip_cuid_ba0cfd3b2fe9da9:
	.byte	0                               ; 0x0
	.size	__hip_cuid_ba0cfd3b2fe9da9, 1

	.ident	"AMD clang version 19.0.0git (https://github.com/RadeonOpenCompute/llvm-project roc-6.4.0 25133 c7fe45cf4b819c5991fe208aaa96edf142730f1d)"
	.section	".note.GNU-stack","",@progbits
	.addrsig
	.addrsig_sym __hip_cuid_ba0cfd3b2fe9da9
	.amdgpu_metadata
---
amdhsa.kernels:
  - .args:
      - .actual_access:  read_only
        .address_space:  global
        .offset:         0
        .size:           8
        .value_kind:     global_buffer
      - .offset:         8
        .size:           8
        .value_kind:     by_value
      - .actual_access:  read_only
        .address_space:  global
        .offset:         16
        .size:           8
        .value_kind:     global_buffer
      - .actual_access:  read_only
        .address_space:  global
        .offset:         24
        .size:           8
        .value_kind:     global_buffer
      - .offset:         32
        .size:           8
        .value_kind:     by_value
      - .actual_access:  read_only
        .address_space:  global
        .offset:         40
        .size:           8
        .value_kind:     global_buffer
      - .actual_access:  read_only
        .address_space:  global
        .offset:         48
        .size:           8
        .value_kind:     global_buffer
      - .offset:         56
        .size:           4
        .value_kind:     by_value
      - .actual_access:  read_only
        .address_space:  global
        .offset:         64
        .size:           8
        .value_kind:     global_buffer
      - .actual_access:  read_only
        .address_space:  global
        .offset:         72
        .size:           8
        .value_kind:     global_buffer
      - .address_space:  global
        .offset:         80
        .size:           8
        .value_kind:     global_buffer
    .group_segment_fixed_size: 0
    .kernarg_segment_align: 8
    .kernarg_segment_size: 88
    .language:       OpenCL C
    .language_version:
      - 2
      - 0
    .max_flat_workgroup_size: 121
    .name:           fft_rtc_back_len88_factors_11_8_wgs_121_tpt_11_halfLds_dp_ip_CI_unitstride_sbrr_R2C_dirReg
    .private_segment_fixed_size: 0
    .sgpr_count:     34
    .sgpr_spill_count: 0
    .symbol:         fft_rtc_back_len88_factors_11_8_wgs_121_tpt_11_halfLds_dp_ip_CI_unitstride_sbrr_R2C_dirReg.kd
    .uniform_work_group_size: 1
    .uses_dynamic_stack: false
    .vgpr_count:     207
    .vgpr_spill_count: 0
    .wavefront_size: 32
    .workgroup_processor_mode: 1
amdhsa.target:   amdgcn-amd-amdhsa--gfx1201
amdhsa.version:
  - 1
  - 2
...

	.end_amdgpu_metadata
